;; amdgpu-corpus repo=ROCm/rocFFT kind=compiled arch=gfx950 opt=O3
	.text
	.amdgcn_target "amdgcn-amd-amdhsa--gfx950"
	.amdhsa_code_object_version 6
	.protected	fft_rtc_fwd_len60_factors_6_10_wgs_60_tpt_10_halfLds_half_op_CI_CI_sbrr_dirReg ; -- Begin function fft_rtc_fwd_len60_factors_6_10_wgs_60_tpt_10_halfLds_half_op_CI_CI_sbrr_dirReg
	.globl	fft_rtc_fwd_len60_factors_6_10_wgs_60_tpt_10_halfLds_half_op_CI_CI_sbrr_dirReg
	.p2align	8
	.type	fft_rtc_fwd_len60_factors_6_10_wgs_60_tpt_10_halfLds_half_op_CI_CI_sbrr_dirReg,@function
fft_rtc_fwd_len60_factors_6_10_wgs_60_tpt_10_halfLds_half_op_CI_CI_sbrr_dirReg: ; @fft_rtc_fwd_len60_factors_6_10_wgs_60_tpt_10_halfLds_half_op_CI_CI_sbrr_dirReg
; %bb.0:
	s_load_dwordx4 s[12:15], s[0:1], 0x18
	s_load_dwordx4 s[8:11], s[0:1], 0x0
	;; [unrolled: 1-line block ×3, first 2 shown]
	v_mul_u32_u24_e32 v1, 0x199a, v0
	v_lshrrev_b32_e32 v2, 16, v1
	s_waitcnt lgkmcnt(0)
	s_load_dwordx2 s[18:19], s[12:13], 0x0
	s_load_dwordx2 s[16:17], s[14:15], 0x0
	v_mad_u64_u32 v[6:7], s[2:3], s2, 6, v[2:3]
	v_mov_b32_e32 v10, 0
	v_mov_b32_e32 v7, v10
	v_cmp_lt_u64_e64 s[2:3], s[10:11], 2
	v_mov_b64_e32 v[8:9], 0
	s_and_b64 vcc, exec, s[2:3]
	v_mov_b64_e32 v[2:3], v[8:9]
	v_mov_b64_e32 v[4:5], v[6:7]
	s_cbranch_vccnz .LBB0_8
; %bb.1:
	s_load_dwordx2 s[2:3], s[0:1], 0x10
	s_add_u32 s20, s14, 8
	s_addc_u32 s21, s15, 0
	s_add_u32 s22, s12, 8
	s_addc_u32 s23, s13, 0
	s_waitcnt lgkmcnt(0)
	s_add_u32 s24, s2, 8
	v_mov_b64_e32 v[8:9], 0
	s_addc_u32 s25, s3, 0
	s_mov_b64 s[26:27], 1
	v_mov_b64_e32 v[2:3], v[8:9]
	v_mov_b64_e32 v[12:13], v[6:7]
.LBB0_2:                                ; =>This Inner Loop Header: Depth=1
	s_load_dwordx2 s[28:29], s[24:25], 0x0
                                        ; implicit-def: $vgpr4_vgpr5
	s_waitcnt lgkmcnt(0)
	v_or_b32_e32 v11, s29, v13
	v_cmp_ne_u64_e32 vcc, 0, v[10:11]
	s_and_saveexec_b64 s[2:3], vcc
	s_xor_b64 s[30:31], exec, s[2:3]
	s_cbranch_execz .LBB0_4
; %bb.3:                                ;   in Loop: Header=BB0_2 Depth=1
	v_cvt_f32_u32_e32 v1, s28
	v_cvt_f32_u32_e32 v4, s29
	s_sub_u32 s2, 0, s28
	s_subb_u32 s3, 0, s29
	v_fmac_f32_e32 v1, 0x4f800000, v4
	v_rcp_f32_e32 v1, v1
	s_nop 0
	v_mul_f32_e32 v1, 0x5f7ffffc, v1
	v_mul_f32_e32 v4, 0x2f800000, v1
	v_trunc_f32_e32 v4, v4
	v_fmac_f32_e32 v1, 0xcf800000, v4
	v_cvt_u32_f32_e32 v7, v4
	v_cvt_u32_f32_e32 v1, v1
	v_mul_lo_u32 v4, s2, v7
	v_mul_hi_u32 v11, s2, v1
	v_mul_lo_u32 v5, s3, v1
	v_add_u32_e32 v11, v11, v4
	v_mul_lo_u32 v16, s2, v1
	v_add_u32_e32 v11, v11, v5
	v_mul_hi_u32 v4, v1, v16
	v_mul_hi_u32 v15, v1, v11
	v_mul_lo_u32 v14, v1, v11
	v_mov_b32_e32 v5, v10
	v_lshl_add_u64 v[4:5], v[4:5], 0, v[14:15]
	v_mul_hi_u32 v15, v7, v16
	v_mul_lo_u32 v16, v7, v16
	v_add_co_u32_e32 v4, vcc, v4, v16
	v_mul_hi_u32 v14, v7, v11
	s_nop 0
	v_addc_co_u32_e32 v4, vcc, v5, v15, vcc
	v_mov_b32_e32 v5, v10
	s_nop 0
	v_addc_co_u32_e32 v15, vcc, 0, v14, vcc
	v_mul_lo_u32 v14, v7, v11
	v_lshl_add_u64 v[4:5], v[4:5], 0, v[14:15]
	v_add_co_u32_e32 v1, vcc, v1, v4
	v_mul_lo_u32 v14, s2, v1
	s_nop 0
	v_addc_co_u32_e32 v7, vcc, v7, v5, vcc
	v_mul_lo_u32 v4, s2, v7
	v_mul_hi_u32 v5, s2, v1
	v_add_u32_e32 v4, v5, v4
	v_mul_lo_u32 v5, s3, v1
	v_add_u32_e32 v11, v4, v5
	v_mul_hi_u32 v17, v7, v14
	v_mul_lo_u32 v18, v7, v14
	v_mul_hi_u32 v5, v1, v11
	v_mul_lo_u32 v4, v1, v11
	v_mul_hi_u32 v14, v1, v14
	v_mov_b32_e32 v15, v10
	v_lshl_add_u64 v[4:5], v[14:15], 0, v[4:5]
	v_add_co_u32_e32 v4, vcc, v4, v18
	v_mul_hi_u32 v16, v7, v11
	s_nop 0
	v_addc_co_u32_e32 v4, vcc, v5, v17, vcc
	v_mul_lo_u32 v14, v7, v11
	s_nop 0
	v_addc_co_u32_e32 v15, vcc, 0, v16, vcc
	v_mov_b32_e32 v5, v10
	v_lshl_add_u64 v[4:5], v[4:5], 0, v[14:15]
	v_add_co_u32_e32 v1, vcc, v1, v4
	v_mul_hi_u32 v14, v12, v1
	s_nop 0
	v_addc_co_u32_e32 v7, vcc, v7, v5, vcc
	v_mad_u64_u32 v[4:5], s[2:3], v12, v7, 0
	v_mov_b32_e32 v15, v10
	v_lshl_add_u64 v[4:5], v[14:15], 0, v[4:5]
	v_mad_u64_u32 v[16:17], s[2:3], v13, v1, 0
	v_add_co_u32_e32 v1, vcc, v4, v16
	v_mad_u64_u32 v[14:15], s[2:3], v13, v7, 0
	s_nop 0
	v_addc_co_u32_e32 v4, vcc, v5, v17, vcc
	v_mov_b32_e32 v5, v10
	s_nop 0
	v_addc_co_u32_e32 v15, vcc, 0, v15, vcc
	v_lshl_add_u64 v[4:5], v[4:5], 0, v[14:15]
	v_mul_lo_u32 v1, s29, v4
	v_mul_lo_u32 v7, s28, v5
	v_mad_u64_u32 v[14:15], s[2:3], s28, v4, 0
	v_add3_u32 v1, v15, v7, v1
	v_sub_u32_e32 v7, v13, v1
	v_mov_b32_e32 v11, s29
	v_sub_co_u32_e32 v18, vcc, v12, v14
	v_lshl_add_u64 v[16:17], v[4:5], 0, 1
	s_nop 0
	v_subb_co_u32_e64 v7, s[2:3], v7, v11, vcc
	v_subrev_co_u32_e64 v11, s[2:3], s28, v18
	v_subb_co_u32_e32 v1, vcc, v13, v1, vcc
	s_nop 0
	v_subbrev_co_u32_e64 v7, s[2:3], 0, v7, s[2:3]
	v_cmp_le_u32_e64 s[2:3], s29, v7
	v_cmp_le_u32_e32 vcc, s29, v1
	s_nop 0
	v_cndmask_b32_e64 v14, 0, -1, s[2:3]
	v_cmp_le_u32_e64 s[2:3], s28, v11
	s_nop 1
	v_cndmask_b32_e64 v11, 0, -1, s[2:3]
	v_cmp_eq_u32_e64 s[2:3], s29, v7
	s_nop 1
	v_cndmask_b32_e64 v7, v14, v11, s[2:3]
	v_lshl_add_u64 v[14:15], v[4:5], 0, 2
	v_cmp_ne_u32_e64 s[2:3], 0, v7
	v_cndmask_b32_e64 v11, 0, -1, vcc
	v_cmp_le_u32_e32 vcc, s28, v18
	v_cndmask_b32_e64 v7, v17, v15, s[2:3]
	s_nop 0
	v_cndmask_b32_e64 v15, 0, -1, vcc
	v_cmp_eq_u32_e32 vcc, s29, v1
	s_nop 1
	v_cndmask_b32_e32 v1, v11, v15, vcc
	v_cmp_ne_u32_e32 vcc, 0, v1
	v_cndmask_b32_e64 v1, v16, v14, s[2:3]
	s_nop 0
	v_cndmask_b32_e32 v5, v5, v7, vcc
	v_cndmask_b32_e32 v4, v4, v1, vcc
.LBB0_4:                                ;   in Loop: Header=BB0_2 Depth=1
	s_andn2_saveexec_b64 s[2:3], s[30:31]
	s_cbranch_execz .LBB0_6
; %bb.5:                                ;   in Loop: Header=BB0_2 Depth=1
	v_cvt_f32_u32_e32 v1, s28
	s_sub_i32 s30, 0, s28
	v_rcp_iflag_f32_e32 v1, v1
	s_nop 0
	v_mul_f32_e32 v1, 0x4f7ffffe, v1
	v_cvt_u32_f32_e32 v1, v1
	v_mul_lo_u32 v4, s30, v1
	v_mul_hi_u32 v4, v1, v4
	v_add_u32_e32 v1, v1, v4
	v_mul_hi_u32 v1, v12, v1
	v_mul_lo_u32 v4, v1, s28
	v_sub_u32_e32 v4, v12, v4
	v_add_u32_e32 v5, 1, v1
	v_subrev_u32_e32 v7, s28, v4
	v_cmp_le_u32_e32 vcc, s28, v4
	s_nop 1
	v_cndmask_b32_e32 v4, v4, v7, vcc
	v_cndmask_b32_e32 v1, v1, v5, vcc
	v_add_u32_e32 v5, 1, v1
	v_cmp_le_u32_e32 vcc, s28, v4
	s_nop 1
	v_cndmask_b32_e32 v4, v1, v5, vcc
	v_mov_b32_e32 v5, v10
.LBB0_6:                                ;   in Loop: Header=BB0_2 Depth=1
	s_or_b64 exec, exec, s[2:3]
	v_mad_u64_u32 v[14:15], s[2:3], v4, s28, 0
	s_load_dwordx2 s[2:3], s[22:23], 0x0
	s_add_u32 s26, s26, 1
	v_mul_lo_u32 v1, v5, s28
	v_mul_lo_u32 v7, v4, s29
	s_load_dwordx2 s[28:29], s[20:21], 0x0
	s_addc_u32 s27, s27, 0
	v_add3_u32 v1, v15, v7, v1
	v_sub_co_u32_e32 v7, vcc, v12, v14
	s_add_u32 s20, s20, 8
	s_nop 0
	v_subb_co_u32_e32 v1, vcc, v13, v1, vcc
	s_addc_u32 s21, s21, 0
	s_waitcnt lgkmcnt(0)
	v_mul_lo_u32 v11, s2, v1
	v_mul_lo_u32 v12, s3, v7
	v_mad_u64_u32 v[8:9], s[2:3], s2, v7, v[8:9]
	s_add_u32 s22, s22, 8
	v_add3_u32 v9, v12, v9, v11
	s_addc_u32 s23, s23, 0
	v_mov_b64_e32 v[12:13], s[10:11]
	v_mul_lo_u32 v1, s28, v1
	v_mul_lo_u32 v11, s29, v7
	v_mad_u64_u32 v[2:3], s[2:3], s28, v7, v[2:3]
	s_add_u32 s24, s24, 8
	v_cmp_ge_u64_e32 vcc, s[26:27], v[12:13]
	v_add3_u32 v3, v11, v3, v1
	s_addc_u32 s25, s25, 0
	s_cbranch_vccnz .LBB0_8
; %bb.7:                                ;   in Loop: Header=BB0_2 Depth=1
	v_mov_b64_e32 v[12:13], v[4:5]
	s_branch .LBB0_2
.LBB0_8:
	s_load_dwordx2 s[0:1], s[0:1], 0x28
	s_lshl_b64 s[10:11], s[10:11], 3
	s_add_u32 s2, s14, s10
	s_addc_u32 s3, s15, s11
                                        ; implicit-def: $vgpr1
	s_waitcnt lgkmcnt(0)
	v_cmp_gt_u64_e32 vcc, s[0:1], v[4:5]
	v_cmp_le_u64_e64 s[0:1], s[0:1], v[4:5]
	s_and_saveexec_b64 s[14:15], s[0:1]
	s_xor_b64 s[0:1], exec, s[14:15]
; %bb.9:
	s_mov_b32 s14, 0x1999999a
	v_mul_hi_u32 v1, v0, s14
	v_mul_u32_u24_e32 v1, 10, v1
	v_sub_u32_e32 v1, v0, v1
                                        ; implicit-def: $vgpr0
                                        ; implicit-def: $vgpr8_vgpr9
; %bb.10:
	s_or_saveexec_b64 s[0:1], s[0:1]
                                        ; implicit-def: $vgpr18
                                        ; implicit-def: $vgpr7
                                        ; implicit-def: $vgpr21
                                        ; implicit-def: $vgpr16
                                        ; implicit-def: $vgpr19
                                        ; implicit-def: $vgpr10
                                        ; implicit-def: $vgpr22
                                        ; implicit-def: $vgpr17
                                        ; implicit-def: $vgpr20
                                        ; implicit-def: $vgpr11
                                        ; implicit-def: $vgpr23
                                        ; implicit-def: $vgpr12
	s_xor_b64 exec, exec, s[0:1]
	s_cbranch_execz .LBB0_12
; %bb.11:
	s_add_u32 s10, s12, s10
	s_addc_u32 s11, s13, s11
	s_load_dwordx2 s[10:11], s[10:11], 0x0
	s_mov_b32 s12, 0x1999999a
	s_waitcnt lgkmcnt(0)
	v_mul_lo_u32 v1, s11, v4
	v_mul_lo_u32 v7, s10, v5
	v_mad_u64_u32 v[10:11], s[10:11], s10, v4, 0
	v_add3_u32 v11, v11, v7, v1
	v_mul_hi_u32 v1, v0, s12
	v_mul_u32_u24_e32 v1, 10, v1
	v_sub_u32_e32 v1, v0, v1
	v_mad_u64_u32 v[12:13], s[10:11], s18, v1, 0
	v_mov_b32_e32 v0, v13
	v_lshl_add_u64 v[10:11], v[10:11], 2, s[4:5]
	v_add_u32_e32 v7, 10, v1
	v_mad_u64_u32 v[14:15], s[10:11], s19, v1, v[0:1]
	v_lshl_add_u64 v[8:9], v[8:9], 2, v[10:11]
	v_mad_u64_u32 v[10:11], s[4:5], s18, v7, 0
	v_mov_b32_e32 v13, v14
	v_mov_b32_e32 v0, v11
	v_lshl_add_u64 v[14:15], v[12:13], 2, v[8:9]
	v_mad_u64_u32 v[12:13], s[4:5], s19, v7, v[0:1]
	v_mov_b32_e32 v11, v12
	v_add_u32_e32 v7, 20, v1
	v_lshl_add_u64 v[18:19], v[10:11], 2, v[8:9]
	v_mad_u64_u32 v[10:11], s[4:5], s18, v7, 0
	v_mov_b32_e32 v0, v11
	v_mad_u64_u32 v[12:13], s[4:5], s19, v7, v[0:1]
	v_mov_b32_e32 v11, v12
	v_add_u32_e32 v7, 30, v1
	v_lshl_add_u64 v[20:21], v[10:11], 2, v[8:9]
	v_mad_u64_u32 v[10:11], s[4:5], s18, v7, 0
	v_mov_b32_e32 v0, v11
	;; [unrolled: 6-line block ×4, first 2 shown]
	v_mad_u64_u32 v[12:13], s[4:5], s19, v7, v[0:1]
	v_mov_b32_e32 v11, v12
	v_lshl_add_u64 v[8:9], v[10:11], 2, v[8:9]
	global_load_dword v12, v[14:15], off
	global_load_dword v11, v[18:19], off
	;; [unrolled: 1-line block ×6, first 2 shown]
	s_waitcnt vmcnt(5)
	v_lshrrev_b32_e32 v23, 16, v12
	s_waitcnt vmcnt(4)
	v_lshrrev_b32_e32 v20, 16, v11
	;; [unrolled: 2-line block ×6, first 2 shown]
.LBB0_12:
	s_or_b64 exec, exec, s[0:1]
	s_mov_b32 s0, 0xaaaaaaab
	v_mul_hi_u32 v0, v6, s0
	v_lshrrev_b32_e32 v0, 2, v0
	v_mul_lo_u32 v0, v0, 6
	v_sub_u32_e32 v0, v6, v0
	v_mul_u32_u24_e32 v13, 60, v0
	v_add_f16_e32 v0, v17, v12
	v_add_f16_e32 v6, v16, v0
	v_add_f16_e32 v0, v16, v17
	v_fma_f16 v0, v0, -0.5, v12
	v_sub_f16_e32 v8, v22, v21
	s_movk_i32 s11, 0x3aee
	s_mov_b32 s10, 0xbaee
	v_fma_f16 v12, v8, s11, v0
	v_fma_f16 v14, v8, s10, v0
	v_add_f16_e32 v0, v10, v11
	v_add_f16_e32 v8, v7, v0
	;; [unrolled: 1-line block ×3, first 2 shown]
	v_fma_f16 v0, v0, -0.5, v11
	v_sub_f16_e32 v9, v19, v18
	v_fma_f16 v27, v9, s11, v0
	v_fma_f16 v24, v9, s10, v0
	v_add_f16_e32 v0, v18, v19
	v_fma_f16 v0, v0, -0.5, v20
	v_sub_f16_e32 v7, v10, v7
	v_fma_f16 v30, v7, s10, v0
	v_fma_f16 v28, v7, s11, v0
	v_mul_f16_e32 v7, 0.5, v27
	s_load_dwordx2 s[4:5], s[2:3], 0x0
	v_fma_f16 v11, v30, s11, v7
	v_mul_f16_e32 v7, -0.5, v24
	v_add_f16_e32 v0, v8, v6
	v_fma_f16 v15, v28, s11, v7
	v_sub_f16_e32 v10, v6, v8
	v_mul_u32_u24_e32 v6, 6, v1
	v_add_f16_e32 v9, v12, v11
	v_add_f16_e32 v7, v14, v15
	v_lshl_add_u32 v6, v6, 1, 0
	v_sub_f16_e32 v8, v12, v11
	v_sub_f16_e32 v11, v14, v15
	v_lshl_add_u32 v29, v13, 1, v6
	v_pack_b32_f16 v12, v7, v10
	v_pack_b32_f16 v14, v0, v9
	ds_write2_b32 v29, v14, v12 offset1:1
	v_pack_b32_f16 v12, v8, v11
	v_cmp_gt_u32_e64 s[0:1], 6, v1
	v_lshlrev_b32_e32 v25, 1, v13
	v_lshlrev_b32_e32 v26, 1, v1
	ds_write_b32 v29, v12 offset:8
	s_waitcnt lgkmcnt(0)
	; wave barrier
	s_waitcnt lgkmcnt(0)
                                        ; implicit-def: $vgpr15
                                        ; implicit-def: $vgpr12
                                        ; implicit-def: $vgpr14
                                        ; implicit-def: $vgpr13
	s_and_saveexec_b64 s[2:3], s[0:1]
	s_cbranch_execz .LBB0_14
; %bb.13:
	v_add3_u32 v0, 0, v25, v26
	v_mul_i32_i24_e32 v7, -10, v1
	v_add3_u32 v6, v6, v7, v25
	ds_read_u16 v0, v0
	ds_read_u16 v9, v6 offset:12
	ds_read_u16 v7, v6 offset:24
	;; [unrolled: 1-line block ×9, first 2 shown]
.LBB0_14:
	s_or_b64 exec, exec, s[2:3]
	v_add_f16_e32 v6, v22, v23
	v_add_f16_e32 v31, v21, v6
	;; [unrolled: 1-line block ×3, first 2 shown]
	v_fma_f16 v6, v6, -0.5, v23
	v_sub_f16_e32 v16, v17, v16
	v_fma_f16 v21, v16, s10, v6
	v_fma_f16 v22, v16, s11, v6
	v_add_f16_e32 v6, v19, v20
	v_mul_f16_e32 v16, 0xbaee, v27
	v_mul_f16_e32 v19, -0.5, v28
	v_add_f16_e32 v17, v18, v6
	v_fma_f16 v18, v30, 0.5, v16
	v_fma_f16 v23, v24, s10, v19
	v_add_f16_e32 v6, v17, v31
	v_add_f16_e32 v16, v21, v18
	;; [unrolled: 1-line block ×3, first 2 shown]
	v_sub_f16_e32 v17, v31, v17
	v_sub_f16_e32 v20, v21, v18
	;; [unrolled: 1-line block ×3, first 2 shown]
	v_pack_b32_f16 v21, v19, v17
	v_pack_b32_f16 v22, v6, v16
	s_waitcnt lgkmcnt(0)
	; wave barrier
	s_waitcnt lgkmcnt(0)
	ds_write2_b32 v29, v22, v21 offset1:1
	v_pack_b32_f16 v21, v20, v18
	ds_write_b32 v29, v21 offset:8
	s_waitcnt lgkmcnt(0)
	; wave barrier
	s_waitcnt lgkmcnt(0)
                                        ; implicit-def: $vgpr22
                                        ; implicit-def: $vgpr23
                                        ; implicit-def: $vgpr21
                                        ; implicit-def: $vgpr24
	s_and_saveexec_b64 s[2:3], s[0:1]
	s_cbranch_execz .LBB0_16
; %bb.15:
	v_add3_u32 v6, 0, v25, v26
	v_add3_u32 v22, 0, v26, v25
	ds_read_u16 v6, v6
	ds_read_u16 v16, v22 offset:12
	ds_read_u16 v19, v22 offset:24
	;; [unrolled: 1-line block ×9, first 2 shown]
.LBB0_16:
	s_or_b64 exec, exec, s[2:3]
	v_cmp_gt_u32_e64 s[2:3], 6, v1
	s_and_b64 s[2:3], vcc, s[2:3]
	s_and_saveexec_b64 s[10:11], s[2:3]
	s_cbranch_execz .LBB0_18
; %bb.17:
	v_add_u32_e32 v25, -6, v1
	v_cndmask_b32_e64 v25, v25, v1, s[0:1]
	v_mul_i32_i24_e32 v26, 9, v25
	v_mov_b32_e32 v27, 0
	v_lshl_add_u64 v[34:35], v[26:27], 2, s[8:9]
	global_load_dwordx4 v[26:29], v[34:35], off
	global_load_dwordx4 v[30:33], v[34:35], off offset:16
	global_load_dword v25, v[34:35], off offset:32
	v_mul_lo_u32 v34, s5, v4
	v_mul_lo_u32 v35, s4, v5
	v_mad_u64_u32 v[4:5], s[0:1], s4, v4, 0
	v_add3_u32 v5, v5, v35, v34
	s_movk_i32 s0, 0x3b9c
	s_mov_b32 s3, 0xbb9c
	s_movk_i32 s1, 0x38b4
	s_mov_b32 s4, 0xb8b4
	s_movk_i32 s2, 0x34f2
	s_movk_i32 s5, 0x3a79
	v_lshl_add_u64 v[4:5], v[4:5], 2, s[6:7]
	v_lshl_add_u64 v[2:3], v[2:3], 2, v[4:5]
	s_waitcnt vmcnt(2)
	v_lshrrev_b32_e32 v34, 16, v27
	v_lshrrev_b32_e32 v35, 16, v29
	s_waitcnt lgkmcnt(7)
	v_mul_f16_e32 v36, v19, v27
	s_waitcnt lgkmcnt(5)
	v_mul_f16_e32 v37, v20, v29
	s_waitcnt vmcnt(1)
	v_lshrrev_b32_e32 v38, 16, v31
	v_lshrrev_b32_e32 v39, 16, v33
	s_waitcnt lgkmcnt(1)
	v_mul_f16_e32 v40, v23, v33
	v_mul_f16_e32 v41, v24, v31
	v_mul_f16_sdwa v47, v10, v28 dst_sel:DWORD dst_unused:UNUSED_PAD src0_sel:DWORD src1_sel:WORD_1
	s_waitcnt vmcnt(0)
	v_mul_f16_sdwa v48, v15, v25 dst_sel:DWORD dst_unused:UNUSED_PAD src0_sel:DWORD src1_sel:WORD_1
	v_mul_f16_sdwa v49, v11, v30 dst_sel:DWORD dst_unused:UNUSED_PAD src0_sel:DWORD src1_sel:WORD_1
	;; [unrolled: 1-line block ×3, first 2 shown]
	v_fma_f16 v36, v7, v34, v36
	v_fma_f16 v37, v8, v35, v37
	;; [unrolled: 1-line block ×4, first 2 shown]
	v_mul_f16_sdwa v42, v17, v28 dst_sel:DWORD dst_unused:UNUSED_PAD src0_sel:DWORD src1_sel:WORD_1
	v_mul_f16_sdwa v43, v18, v30 dst_sel:DWORD dst_unused:UNUSED_PAD src0_sel:DWORD src1_sel:WORD_1
	s_waitcnt lgkmcnt(0)
	v_mul_f16_sdwa v44, v22, v25 dst_sel:DWORD dst_unused:UNUSED_PAD src0_sel:DWORD src1_sel:WORD_1
	v_mul_f16_sdwa v45, v21, v32 dst_sel:DWORD dst_unused:UNUSED_PAD src0_sel:DWORD src1_sel:WORD_1
	;; [unrolled: 1-line block ×4, first 2 shown]
	v_mul_f16_e32 v20, v20, v35
	v_mul_f16_e32 v24, v24, v38
	v_mul_f16_e32 v19, v19, v34
	v_mul_f16_e32 v23, v23, v39
	v_fma_f16 v17, v17, v28, v47
	v_fma_f16 v22, v22, v25, v48
	;; [unrolled: 1-line block ×4, first 2 shown]
	v_sub_f16_e32 v34, v37, v36
	v_sub_f16_e32 v35, v41, v40
	v_fma_f16 v10, v10, v28, -v42
	v_fma_f16 v11, v11, v30, -v43
	;; [unrolled: 1-line block ×5, first 2 shown]
	v_fma_f16 v16, v16, v26, v51
	v_sub_f16_e32 v25, v36, v37
	v_sub_f16_e32 v26, v40, v41
	v_fma_f16 v8, v8, v29, -v20
	v_fma_f16 v13, v13, v31, -v24
	v_fma_f16 v7, v7, v27, -v19
	v_fma_f16 v12, v12, v33, -v23
	v_add_f16_e32 v19, v37, v41
	v_add_f16_e32 v34, v34, v35
	;; [unrolled: 1-line block ×3, first 2 shown]
	v_sub_f16_e32 v48, v18, v17
	v_sub_f16_e32 v49, v21, v22
	;; [unrolled: 1-line block ×4, first 2 shown]
	v_add_f16_e32 v24, v11, v14
	v_sub_f16_e32 v29, v17, v18
	v_sub_f16_e32 v30, v22, v21
	v_add_f16_e32 v33, v18, v21
	v_add_f16_e32 v25, v25, v26
	v_sub_f16_e32 v26, v8, v13
	v_sub_f16_e32 v38, v7, v12
	v_fma_f16 v19, v19, -0.5, v6
	v_fma_f16 v35, v35, -0.5, v6
	v_add_f16_e32 v48, v48, v49
	v_add_f16_e32 v49, v17, v22
	;; [unrolled: 1-line block ×3, first 2 shown]
	v_fma_f16 v23, v24, -0.5, v9
	v_add_f16_e32 v24, v29, v30
	v_fma_f16 v29, v33, -0.5, v16
	v_fma_f16 v30, v38, s0, v19
	v_fma_f16 v44, v26, s3, v35
	v_fma_f16 v49, v49, -0.5, v16
	v_fma_f16 v35, v26, s0, v35
	v_fma_f16 v19, v38, s3, v19
	v_add_f16_e32 v16, v17, v16
	v_sub_f16_e32 v31, v11, v14
	v_sub_f16_e32 v32, v10, v15
	v_fma_f16 v30, v26, s1, v30
	v_fma_f16 v44, v38, s1, v44
	v_sub_f16_e32 v45, v11, v10
	v_sub_f16_e32 v46, v14, v15
	v_fma_f16 v35, v38, s4, v35
	v_fma_f16 v19, v26, s4, v19
	v_add_f16_e32 v16, v18, v16
	v_sub_f16_e32 v28, v18, v21
	v_fma_f16 v39, v32, s0, v29
	v_fma_f16 v30, v25, s2, v30
	;; [unrolled: 1-line block ×3, first 2 shown]
	v_add_f16_e32 v45, v45, v46
	v_add_f16_e32 v46, v10, v15
	v_fma_f16 v50, v31, s3, v49
	v_fma_f16 v34, v34, s2, v35
	;; [unrolled: 1-line block ×5, first 2 shown]
	v_add_f16_e32 v16, v21, v16
	v_sub_f16_e32 v18, v7, v8
	v_sub_f16_e32 v21, v12, v13
	v_fma_f16 v39, v31, s1, v39
	v_fma_f16 v46, v46, -0.5, v9
	v_fma_f16 v50, v32, s1, v50
	v_fma_f16 v35, v32, s4, v35
	;; [unrolled: 1-line block ×3, first 2 shown]
	v_add_f16_e32 v18, v18, v21
	v_add_f16_e32 v21, v8, v13
	v_sub_f16_e32 v31, v8, v7
	v_sub_f16_e32 v32, v13, v12
	;; [unrolled: 1-line block ×3, first 2 shown]
	v_fma_f16 v47, v28, s0, v46
	v_fma_f16 v46, v28, s3, v46
	v_add_f16_e32 v16, v22, v16
	v_fma_f16 v21, v21, -0.5, v0
	v_sub_f16_e32 v22, v36, v40
	v_add_f16_e32 v31, v31, v32
	v_add_f16_e32 v32, v7, v12
	v_fma_f16 v33, v27, s3, v23
	v_fma_f16 v47, v27, s4, v47
	;; [unrolled: 1-line block ×4, first 2 shown]
	v_add_f16_e32 v6, v6, v36
	v_fma_f16 v26, v22, s3, v21
	v_sub_f16_e32 v27, v37, v41
	v_fma_f16 v32, v32, -0.5, v0
	v_fma_f16 v21, v22, s0, v21
	v_add_f16_e32 v0, v0, v7
	v_add_f16_e32 v7, v10, v9
	v_fma_f16 v33, v28, s4, v33
	v_fma_f16 v39, v24, s2, v39
	;; [unrolled: 1-line block ×4, first 2 shown]
	v_add_f16_e32 v6, v6, v37
	v_fma_f16 v26, v27, s4, v26
	v_fma_f16 v21, v27, s1, v21
	v_add_f16_e32 v0, v0, v8
	v_add_f16_e32 v7, v11, v7
	v_fma_f16 v33, v20, s2, v33
	v_mul_f16_e32 v42, 0x3a79, v39
	v_fma_f16 v47, v45, s2, v47
	v_fma_f16 v20, v20, s2, v23
	v_add_f16_e32 v6, v6, v41
	v_fma_f16 v26, v18, s2, v26
	v_fma_f16 v18, v18, s2, v21
	v_mul_f16_e32 v21, 0x38b4, v24
	v_add_f16_e32 v0, v0, v13
	v_add_f16_e32 v7, v14, v7
	v_fma_f16 v42, v33, s4, -v42
	v_fma_f16 v50, v48, s2, v50
	v_mul_f16_e32 v23, 0xb8b4, v20
	v_add_f16_e32 v6, v40, v6
	v_mul_f16_e32 v28, 0x3a79, v33
	v_fma_f16 v33, v27, s0, v32
	v_mul_f16_e32 v36, 0x34f2, v47
	v_fma_f16 v32, v27, s3, v32
	v_fma_f16 v20, v20, s5, v21
	v_add_f16_e32 v0, v12, v0
	v_add_f16_e32 v7, v15, v7
	v_sub_f16_e32 v17, v6, v16
	v_fma_f16 v28, v39, s1, -v28
	v_fma_f16 v36, v50, s0, -v36
	v_fma_f16 v32, v22, s1, v32
	v_sub_f16_e32 v21, v18, v20
	v_sub_f16_e32 v10, v0, v7
	v_add_f16_e32 v15, v6, v16
	v_add_f16_e32 v18, v18, v20
	;; [unrolled: 1-line block ×3, first 2 shown]
	v_mad_u64_u32 v[6:7], s[0:1], s16, v1, 0
	v_mov_b32_e32 v0, v7
	v_mad_u64_u32 v[8:9], s[0:1], s17, v1, v[0:1]
	v_mov_b32_e32 v7, v8
	v_lshl_add_u64 v[4:5], v[6:7], 2, v[2:3]
	v_pack_b32_f16 v0, v20, v15
	v_add_u32_e32 v6, 6, v1
	global_store_dword v[4:5], v0, off
	v_mad_u64_u32 v[4:5], s[0:1], s16, v6, 0
	v_mov_b32_e32 v0, v5
	v_fma_f16 v23, v24, s5, v23
	v_mad_u64_u32 v[6:7], s[0:1], s17, v6, v[0:1]
	v_add_f16_e32 v14, v19, v23
	v_mov_b32_e32 v5, v6
	v_lshl_add_u64 v[4:5], v[4:5], 2, v[2:3]
	v_pack_b32_f16 v0, v18, v14
	v_add_u32_e32 v6, 12, v1
	v_fma_f16 v35, v48, s2, v35
	v_fma_f16 v45, v45, s2, v46
	;; [unrolled: 1-line block ×3, first 2 shown]
	global_store_dword v[4:5], v0, off
	v_mad_u64_u32 v[4:5], s[0:1], s16, v6, 0
	v_mul_f16_e32 v46, 0xbb9c, v45
	v_fma_f16 v33, v31, s2, v33
	v_fma_f16 v31, v31, s2, v32
	v_mul_f16_e32 v32, 0x3b9c, v35
	v_mov_b32_e32 v0, v5
	v_fma_f16 v46, v35, s2, v46
	v_fma_f16 v32, v45, s2, v32
	v_mad_u64_u32 v[6:7], s[0:1], s17, v6, v[0:1]
	v_add_f16_e32 v13, v34, v46
	v_add_f16_e32 v22, v31, v32
	v_mov_b32_e32 v5, v6
	v_lshl_add_u64 v[4:5], v[4:5], 2, v[2:3]
	v_pack_b32_f16 v0, v22, v13
	v_add_u32_e32 v6, 18, v1
	global_store_dword v[4:5], v0, off
	v_mad_u64_u32 v[4:5], s[0:1], s16, v6, 0
	v_mul_f16_e32 v51, 0x34f2, v50
	v_mov_b32_e32 v0, v5
	v_fma_f16 v51, v47, s3, -v51
	v_mad_u64_u32 v[6:7], s[0:1], s17, v6, v[0:1]
	v_sub_f16_e32 v25, v19, v23
	v_add_f16_e32 v12, v44, v51
	v_add_f16_e32 v19, v33, v36
	v_mov_b32_e32 v5, v6
	v_lshl_add_u64 v[4:5], v[4:5], 2, v[2:3]
	v_pack_b32_f16 v0, v19, v12
	v_or_b32_e32 v6, 24, v1
	global_store_dword v[4:5], v0, off
	v_mad_u64_u32 v[4:5], s[0:1], s16, v6, 0
	v_mov_b32_e32 v0, v5
	v_mad_u64_u32 v[6:7], s[0:1], s17, v6, v[0:1]
	v_add_f16_e32 v11, v30, v42
	v_add_f16_e32 v16, v26, v28
	v_mov_b32_e32 v5, v6
	v_lshl_add_u64 v[4:5], v[4:5], 2, v[2:3]
	v_pack_b32_f16 v0, v16, v11
	v_add_u32_e32 v6, 30, v1
	global_store_dword v[4:5], v0, off
	v_mad_u64_u32 v[4:5], s[0:1], s16, v6, 0
	v_mov_b32_e32 v0, v5
	v_mad_u64_u32 v[6:7], s[0:1], s17, v6, v[0:1]
	v_mov_b32_e32 v5, v6
	v_lshl_add_u64 v[4:5], v[4:5], 2, v[2:3]
	v_pack_b32_f16 v0, v10, v17
	v_add_u32_e32 v6, 36, v1
	global_store_dword v[4:5], v0, off
	v_mad_u64_u32 v[4:5], s[0:1], s16, v6, 0
	v_mov_b32_e32 v0, v5
	v_mad_u64_u32 v[6:7], s[0:1], s17, v6, v[0:1]
	;; [unrolled: 8-line block ×3, first 2 shown]
	v_sub_f16_e32 v48, v34, v46
	v_sub_f16_e32 v35, v31, v32
	v_mov_b32_e32 v5, v6
	v_lshl_add_u64 v[4:5], v[4:5], 2, v[2:3]
	v_pack_b32_f16 v0, v35, v48
	v_or_b32_e32 v6, 48, v1
	global_store_dword v[4:5], v0, off
	v_mad_u64_u32 v[4:5], s[0:1], s16, v6, 0
	v_mov_b32_e32 v0, v5
	v_mad_u64_u32 v[6:7], s[0:1], s17, v6, v[0:1]
	v_sub_f16_e32 v52, v44, v51
	v_sub_f16_e32 v37, v33, v36
	v_mov_b32_e32 v5, v6
	v_lshl_add_u64 v[4:5], v[4:5], 2, v[2:3]
	v_pack_b32_f16 v0, v37, v52
	global_store_dword v[4:5], v0, off
	v_add_u32_e32 v5, 54, v1
	v_mad_u64_u32 v[0:1], s[0:1], s16, v5, 0
	v_mov_b32_e32 v4, v1
	v_mad_u64_u32 v[4:5], s[0:1], s17, v5, v[4:5]
	v_sub_f16_e32 v43, v30, v42
	v_sub_f16_e32 v29, v26, v28
	v_mov_b32_e32 v1, v4
	v_lshl_add_u64 v[0:1], v[0:1], 2, v[2:3]
	v_pack_b32_f16 v2, v29, v43
	global_store_dword v[0:1], v2, off
.LBB0_18:
	s_endpgm
	.section	.rodata,"a",@progbits
	.p2align	6, 0x0
	.amdhsa_kernel fft_rtc_fwd_len60_factors_6_10_wgs_60_tpt_10_halfLds_half_op_CI_CI_sbrr_dirReg
		.amdhsa_group_segment_fixed_size 0
		.amdhsa_private_segment_fixed_size 0
		.amdhsa_kernarg_size 104
		.amdhsa_user_sgpr_count 2
		.amdhsa_user_sgpr_dispatch_ptr 0
		.amdhsa_user_sgpr_queue_ptr 0
		.amdhsa_user_sgpr_kernarg_segment_ptr 1
		.amdhsa_user_sgpr_dispatch_id 0
		.amdhsa_user_sgpr_kernarg_preload_length 0
		.amdhsa_user_sgpr_kernarg_preload_offset 0
		.amdhsa_user_sgpr_private_segment_size 0
		.amdhsa_uses_dynamic_stack 0
		.amdhsa_enable_private_segment 0
		.amdhsa_system_sgpr_workgroup_id_x 1
		.amdhsa_system_sgpr_workgroup_id_y 0
		.amdhsa_system_sgpr_workgroup_id_z 0
		.amdhsa_system_sgpr_workgroup_info 0
		.amdhsa_system_vgpr_workitem_id 0
		.amdhsa_next_free_vgpr 53
		.amdhsa_next_free_sgpr 32
		.amdhsa_accum_offset 56
		.amdhsa_reserve_vcc 1
		.amdhsa_float_round_mode_32 0
		.amdhsa_float_round_mode_16_64 0
		.amdhsa_float_denorm_mode_32 3
		.amdhsa_float_denorm_mode_16_64 3
		.amdhsa_dx10_clamp 1
		.amdhsa_ieee_mode 1
		.amdhsa_fp16_overflow 0
		.amdhsa_tg_split 0
		.amdhsa_exception_fp_ieee_invalid_op 0
		.amdhsa_exception_fp_denorm_src 0
		.amdhsa_exception_fp_ieee_div_zero 0
		.amdhsa_exception_fp_ieee_overflow 0
		.amdhsa_exception_fp_ieee_underflow 0
		.amdhsa_exception_fp_ieee_inexact 0
		.amdhsa_exception_int_div_zero 0
	.end_amdhsa_kernel
	.text
.Lfunc_end0:
	.size	fft_rtc_fwd_len60_factors_6_10_wgs_60_tpt_10_halfLds_half_op_CI_CI_sbrr_dirReg, .Lfunc_end0-fft_rtc_fwd_len60_factors_6_10_wgs_60_tpt_10_halfLds_half_op_CI_CI_sbrr_dirReg
                                        ; -- End function
	.section	.AMDGPU.csdata,"",@progbits
; Kernel info:
; codeLenInByte = 4184
; NumSgprs: 38
; NumVgprs: 53
; NumAgprs: 0
; TotalNumVgprs: 53
; ScratchSize: 0
; MemoryBound: 0
; FloatMode: 240
; IeeeMode: 1
; LDSByteSize: 0 bytes/workgroup (compile time only)
; SGPRBlocks: 4
; VGPRBlocks: 6
; NumSGPRsForWavesPerEU: 38
; NumVGPRsForWavesPerEU: 53
; AccumOffset: 56
; Occupancy: 8
; WaveLimiterHint : 1
; COMPUTE_PGM_RSRC2:SCRATCH_EN: 0
; COMPUTE_PGM_RSRC2:USER_SGPR: 2
; COMPUTE_PGM_RSRC2:TRAP_HANDLER: 0
; COMPUTE_PGM_RSRC2:TGID_X_EN: 1
; COMPUTE_PGM_RSRC2:TGID_Y_EN: 0
; COMPUTE_PGM_RSRC2:TGID_Z_EN: 0
; COMPUTE_PGM_RSRC2:TIDIG_COMP_CNT: 0
; COMPUTE_PGM_RSRC3_GFX90A:ACCUM_OFFSET: 13
; COMPUTE_PGM_RSRC3_GFX90A:TG_SPLIT: 0
	.text
	.p2alignl 6, 3212836864
	.fill 256, 4, 3212836864
	.type	__hip_cuid_fe030bbaeb693d55,@object ; @__hip_cuid_fe030bbaeb693d55
	.section	.bss,"aw",@nobits
	.globl	__hip_cuid_fe030bbaeb693d55
__hip_cuid_fe030bbaeb693d55:
	.byte	0                               ; 0x0
	.size	__hip_cuid_fe030bbaeb693d55, 1

	.ident	"AMD clang version 19.0.0git (https://github.com/RadeonOpenCompute/llvm-project roc-6.4.0 25133 c7fe45cf4b819c5991fe208aaa96edf142730f1d)"
	.section	".note.GNU-stack","",@progbits
	.addrsig
	.addrsig_sym __hip_cuid_fe030bbaeb693d55
	.amdgpu_metadata
---
amdhsa.kernels:
  - .agpr_count:     0
    .args:
      - .actual_access:  read_only
        .address_space:  global
        .offset:         0
        .size:           8
        .value_kind:     global_buffer
      - .offset:         8
        .size:           8
        .value_kind:     by_value
      - .actual_access:  read_only
        .address_space:  global
        .offset:         16
        .size:           8
        .value_kind:     global_buffer
      - .actual_access:  read_only
        .address_space:  global
        .offset:         24
        .size:           8
        .value_kind:     global_buffer
      - .actual_access:  read_only
        .address_space:  global
        .offset:         32
        .size:           8
        .value_kind:     global_buffer
      - .offset:         40
        .size:           8
        .value_kind:     by_value
      - .actual_access:  read_only
        .address_space:  global
        .offset:         48
        .size:           8
        .value_kind:     global_buffer
      - .actual_access:  read_only
        .address_space:  global
        .offset:         56
        .size:           8
        .value_kind:     global_buffer
      - .offset:         64
        .size:           4
        .value_kind:     by_value
      - .actual_access:  read_only
        .address_space:  global
        .offset:         72
        .size:           8
        .value_kind:     global_buffer
      - .actual_access:  read_only
        .address_space:  global
        .offset:         80
        .size:           8
        .value_kind:     global_buffer
      - .actual_access:  read_only
        .address_space:  global
        .offset:         88
        .size:           8
        .value_kind:     global_buffer
      - .actual_access:  write_only
        .address_space:  global
        .offset:         96
        .size:           8
        .value_kind:     global_buffer
    .group_segment_fixed_size: 0
    .kernarg_segment_align: 8
    .kernarg_segment_size: 104
    .language:       OpenCL C
    .language_version:
      - 2
      - 0
    .max_flat_workgroup_size: 60
    .name:           fft_rtc_fwd_len60_factors_6_10_wgs_60_tpt_10_halfLds_half_op_CI_CI_sbrr_dirReg
    .private_segment_fixed_size: 0
    .sgpr_count:     38
    .sgpr_spill_count: 0
    .symbol:         fft_rtc_fwd_len60_factors_6_10_wgs_60_tpt_10_halfLds_half_op_CI_CI_sbrr_dirReg.kd
    .uniform_work_group_size: 1
    .uses_dynamic_stack: false
    .vgpr_count:     53
    .vgpr_spill_count: 0
    .wavefront_size: 64
amdhsa.target:   amdgcn-amd-amdhsa--gfx950
amdhsa.version:
  - 1
  - 2
...

	.end_amdgpu_metadata
